;; amdgpu-corpus repo=ROCm/rocFFT kind=compiled arch=gfx906 opt=O3
	.text
	.amdgcn_target "amdgcn-amd-amdhsa--gfx906"
	.amdhsa_code_object_version 6
	.protected	bluestein_single_fwd_len462_dim1_sp_op_CI_CI ; -- Begin function bluestein_single_fwd_len462_dim1_sp_op_CI_CI
	.globl	bluestein_single_fwd_len462_dim1_sp_op_CI_CI
	.p2align	8
	.type	bluestein_single_fwd_len462_dim1_sp_op_CI_CI,@function
bluestein_single_fwd_len462_dim1_sp_op_CI_CI: ; @bluestein_single_fwd_len462_dim1_sp_op_CI_CI
; %bb.0:
	v_mul_u32_u24_e32 v1, 0x354, v0
	s_load_dwordx4 s[0:3], s[4:5], 0x28
	v_lshrrev_b32_e32 v1, 16, v1
	v_mad_u64_u32 v[40:41], s[6:7], s6, 3, v[1:2]
	v_mov_b32_e32 v41, 0
	s_waitcnt lgkmcnt(0)
	v_cmp_gt_u64_e32 vcc, s[0:1], v[40:41]
	s_and_saveexec_b64 s[0:1], vcc
	s_cbranch_execz .LBB0_23
; %bb.1:
	s_mov_b32 s0, 0xaaaaaaab
	v_mul_hi_u32 v2, v40, s0
	v_mul_lo_u16_e32 v1, 0x4d, v1
	s_load_dwordx2 s[12:13], s[4:5], 0x0
	s_load_dwordx2 s[14:15], s[4:5], 0x38
	v_sub_u16_e32 v48, v0, v1
	v_lshrrev_b32_e32 v0, 1, v2
	v_lshl_add_u32 v0, v0, 1, v0
	v_sub_u32_e32 v0, v40, v0
	v_mul_u32_u24_e32 v50, 0x1ce, v0
	v_cmp_gt_u16_e32 vcc, 42, v48
	v_lshlrev_b32_e32 v47, 3, v48
	v_lshlrev_b32_e32 v49, 3, v50
	s_and_saveexec_b64 s[6:7], vcc
	s_cbranch_execz .LBB0_3
; %bb.2:
	s_load_dwordx2 s[0:1], s[4:5], 0x18
	s_waitcnt lgkmcnt(0)
	s_load_dwordx4 s[8:11], s[0:1], 0x0
	s_waitcnt lgkmcnt(0)
	v_mad_u64_u32 v[0:1], s[0:1], s10, v40, 0
	v_mad_u64_u32 v[2:3], s[0:1], s8, v48, 0
	;; [unrolled: 1-line block ×4, first 2 shown]
	v_mov_b32_e32 v1, v4
	v_lshlrev_b64 v[0:1], 3, v[0:1]
	v_mov_b32_e32 v3, v5
	v_mov_b32_e32 v6, s3
	v_lshlrev_b64 v[2:3], 3, v[2:3]
	v_add_co_u32_e64 v0, s[0:1], s2, v0
	v_addc_co_u32_e64 v1, s[0:1], v6, v1, s[0:1]
	v_add_co_u32_e64 v0, s[0:1], v0, v2
	v_addc_co_u32_e64 v1, s[0:1], v1, v3, s[0:1]
	s_mul_i32 s0, s9, 0x150
	s_mul_hi_u32 s1, s8, 0x150
	s_mul_i32 s2, s8, 0x150
	s_add_i32 s3, s1, s0
	v_mov_b32_e32 v3, s3
	v_add_co_u32_e64 v2, s[0:1], s2, v0
	v_addc_co_u32_e64 v3, s[0:1], v1, v3, s[0:1]
	v_mov_b32_e32 v5, s3
	v_add_co_u32_e64 v4, s[0:1], s2, v2
	v_addc_co_u32_e64 v5, s[0:1], v3, v5, s[0:1]
	global_load_dwordx2 v[6:7], v[0:1], off
	global_load_dwordx2 v[8:9], v[2:3], off
	;; [unrolled: 1-line block ×3, first 2 shown]
	global_load_dwordx2 v[12:13], v47, s[12:13]
	global_load_dwordx2 v[14:15], v47, s[12:13] offset:336
	global_load_dwordx2 v[16:17], v47, s[12:13] offset:672
	;; [unrolled: 1-line block ×9, first 2 shown]
	v_mov_b32_e32 v1, s3
	v_add_co_u32_e64 v0, s[0:1], s2, v4
	v_addc_co_u32_e64 v1, s[0:1], v5, v1, s[0:1]
	v_mov_b32_e32 v32, s3
	global_load_dwordx2 v[2:3], v[0:1], off
	v_add_co_u32_e64 v0, s[0:1], s2, v0
	v_addc_co_u32_e64 v1, s[0:1], v1, v32, s[0:1]
	v_mov_b32_e32 v33, s3
	global_load_dwordx2 v[4:5], v[0:1], off
	;; [unrolled: 4-line block ×7, first 2 shown]
	v_add_co_u32_e64 v0, s[0:1], s2, v0
	v_addc_co_u32_e64 v1, s[0:1], v1, v43, s[0:1]
	global_load_dwordx2 v[43:44], v47, s[12:13] offset:3360
	global_load_dwordx2 v[45:46], v[0:1], off
	s_waitcnt vmcnt(18)
	v_mul_f32_e32 v0, v7, v13
	v_mul_f32_e32 v1, v6, v13
	v_fmac_f32_e32 v0, v6, v12
	s_waitcnt vmcnt(17)
	v_mul_f32_e32 v6, v8, v15
	v_fma_f32 v1, v7, v12, -v1
	v_fma_f32 v7, v9, v14, -v6
	v_mul_f32_e32 v6, v9, v15
	v_fmac_f32_e32 v6, v8, v14
	s_waitcnt vmcnt(16)
	v_mul_f32_e32 v8, v10, v17
	v_fma_f32 v9, v11, v16, -v8
	v_mul_f32_e32 v8, v11, v17
	v_fmac_f32_e32 v8, v10, v16
	v_lshl_add_u32 v10, v48, 3, v49
	ds_write_b64 v10, v[0:1]
	v_add_u32_e32 v10, v49, v47
	ds_write2_b64 v10, v[6:7], v[8:9] offset0:42 offset1:84
	s_waitcnt vmcnt(8)
	v_mul_f32_e32 v0, v3, v19
	v_mul_f32_e32 v1, v2, v19
	v_fmac_f32_e32 v0, v2, v18
	v_fma_f32 v1, v3, v18, -v1
	s_waitcnt vmcnt(7)
	v_mul_f32_e32 v2, v5, v21
	v_mul_f32_e32 v3, v4, v21
	v_fmac_f32_e32 v2, v4, v20
	v_fma_f32 v3, v5, v20, -v3
	ds_write2_b64 v10, v[0:1], v[2:3] offset0:126 offset1:168
	v_add_u32_e32 v4, 0x800, v10
	s_waitcnt vmcnt(6)
	v_mul_f32_e32 v0, v33, v23
	v_mul_f32_e32 v1, v32, v23
	v_fmac_f32_e32 v0, v32, v22
	v_fma_f32 v1, v33, v22, -v1
	s_waitcnt vmcnt(5)
	v_mul_f32_e32 v2, v35, v25
	v_mul_f32_e32 v3, v34, v25
	v_fmac_f32_e32 v2, v34, v24
	v_fma_f32 v3, v35, v24, -v3
	ds_write2_b64 v10, v[0:1], v[2:3] offset0:210 offset1:252
	s_waitcnt vmcnt(4)
	v_mul_f32_e32 v0, v37, v27
	v_mul_f32_e32 v1, v36, v27
	v_fmac_f32_e32 v0, v36, v26
	v_fma_f32 v1, v37, v26, -v1
	s_waitcnt vmcnt(3)
	v_mul_f32_e32 v2, v39, v29
	v_mul_f32_e32 v3, v38, v29
	v_fmac_f32_e32 v2, v38, v28
	v_fma_f32 v3, v39, v28, -v3
	ds_write2_b64 v4, v[0:1], v[2:3] offset0:38 offset1:80
	;; [unrolled: 11-line block ×3, first 2 shown]
.LBB0_3:
	s_or_b64 exec, exec, s[6:7]
	s_load_dwordx2 s[0:1], s[4:5], 0x20
	s_load_dwordx2 s[2:3], s[4:5], 0x8
	v_mov_b32_e32 v8, 0
	v_mov_b32_e32 v9, 0
	s_waitcnt lgkmcnt(0)
	s_barrier
	s_waitcnt lgkmcnt(0)
                                        ; implicit-def: $vgpr12
                                        ; implicit-def: $vgpr24
                                        ; implicit-def: $vgpr28
                                        ; implicit-def: $vgpr22
                                        ; implicit-def: $vgpr18
	s_and_saveexec_b64 s[4:5], vcc
	s_cbranch_execz .LBB0_5
; %bb.4:
	v_lshl_add_u32 v0, v50, 3, v47
	v_add_u32_e32 v1, 0x400, v0
	ds_read2_b64 v[8:11], v0 offset1:42
	ds_read2_b64 v[16:19], v0 offset0:84 offset1:126
	ds_read2_b64 v[20:23], v0 offset0:168 offset1:210
	;; [unrolled: 1-line block ×3, first 2 shown]
	v_add_u32_e32 v1, 0x800, v0
	ds_read2_b64 v[24:27], v1 offset0:80 offset1:122
	ds_read_b64 v[28:29], v0 offset:3360
.LBB0_5:
	s_or_b64 exec, exec, s[4:5]
	s_waitcnt lgkmcnt(0)
	v_sub_f32_e32 v5, v11, v29
	v_mul_f32_e32 v30, 0xbf0a6770, v5
	v_sub_f32_e32 v89, v17, v27
	v_add_f32_e32 v38, v28, v10
	v_sub_f32_e32 v4, v10, v28
	v_mov_b32_e32 v0, v30
	v_mul_f32_e32 v32, 0xbf68dda4, v89
	v_add_f32_e32 v39, v29, v11
	s_mov_b32 s6, 0x3f575c64
	v_mul_f32_e32 v31, 0xbf0a6770, v4
	v_fmac_f32_e32 v0, 0x3f575c64, v38
	v_add_f32_e32 v45, v26, v16
	v_sub_f32_e32 v51, v16, v26
	v_mov_b32_e32 v2, v32
	v_add_f32_e32 v0, v0, v8
	v_fma_f32 v1, v39, s6, -v31
	s_mov_b32 s4, 0x3ed4b147
	v_add_f32_e32 v46, v27, v17
	v_mul_f32_e32 v33, 0xbf68dda4, v51
	v_fmac_f32_e32 v2, 0x3ed4b147, v45
	v_sub_f32_e32 v90, v19, v25
	v_add_f32_e32 v1, v1, v9
	v_add_f32_e32 v0, v2, v0
	v_fma_f32 v2, v46, s4, -v33
	v_mul_f32_e32 v34, 0xbf7d64f0, v90
	v_add_f32_e32 v1, v2, v1
	v_add_f32_e32 v55, v24, v18
	v_sub_f32_e32 v91, v18, v24
	v_mov_b32_e32 v2, v34
	s_mov_b32 s5, 0xbe11bafb
	v_add_f32_e32 v56, v25, v19
	v_mul_f32_e32 v35, 0xbf7d64f0, v91
	v_fmac_f32_e32 v2, 0xbe11bafb, v55
	v_sub_f32_e32 v92, v21, v15
	v_add_f32_e32 v0, v2, v0
	v_fma_f32 v2, v56, s5, -v35
	v_mul_f32_e32 v36, 0xbf4178ce, v92
	v_add_f32_e32 v1, v2, v1
	v_add_f32_e32 v61, v14, v20
	v_mov_b32_e32 v2, v36
	v_sub_f32_e32 v96, v20, v14
	v_fmac_f32_e32 v2, 0xbf27a4f4, v61
	s_mov_b32 s7, 0xbf27a4f4
	v_add_f32_e32 v64, v15, v21
	v_mul_f32_e32 v37, 0xbf4178ce, v96
	v_sub_f32_e32 v97, v23, v13
	v_add_f32_e32 v0, v2, v0
	v_fma_f32 v2, v64, s7, -v37
	v_mul_f32_e32 v43, 0xbe903f40, v97
	v_add_f32_e32 v1, v2, v1
	v_add_f32_e32 v66, v12, v22
	v_mov_b32_e32 v2, v43
	v_sub_f32_e32 v98, v22, v12
	s_mov_b32 s8, 0xbf75a155
	v_fmac_f32_e32 v2, 0xbf75a155, v66
	v_add_f32_e32 v67, v13, v23
	v_mul_f32_e32 v44, 0xbe903f40, v98
	v_add_f32_e32 v41, v2, v0
	v_fma_f32 v0, v67, s8, -v44
	v_mul_f32_e32 v52, 0xbf68dda4, v5
	v_add_f32_e32 v42, v0, v1
	v_mov_b32_e32 v0, v52
	v_mul_f32_e32 v53, 0xbf4178ce, v89
	v_fmac_f32_e32 v0, 0x3ed4b147, v38
	v_mov_b32_e32 v1, v53
	v_add_f32_e32 v0, v0, v8
	v_fmac_f32_e32 v1, 0xbf27a4f4, v45
	v_mul_f32_e32 v58, 0xbf68dda4, v4
	v_add_f32_e32 v0, v1, v0
	v_fma_f32 v1, v39, s4, -v58
	v_mul_f32_e32 v59, 0xbf4178ce, v51
	v_add_f32_e32 v1, v1, v9
	v_fma_f32 v2, v46, s7, -v59
	v_mul_f32_e32 v54, 0x3e903f40, v90
	v_add_f32_e32 v1, v2, v1
	v_mov_b32_e32 v2, v54
	v_fmac_f32_e32 v2, 0xbf75a155, v55
	v_mul_f32_e32 v62, 0x3e903f40, v91
	v_add_f32_e32 v0, v2, v0
	v_fma_f32 v2, v56, s8, -v62
	v_mul_f32_e32 v57, 0x3f7d64f0, v92
	v_add_f32_e32 v1, v2, v1
	v_mov_b32_e32 v2, v57
	v_fmac_f32_e32 v2, 0xbe11bafb, v61
	;; [unrolled: 7-line block ×3, first 2 shown]
	v_mul_f32_e32 v65, 0x3f0a6770, v98
	v_mul_f32_e32 v68, 0xbf7d64f0, v5
	v_fma_f32 v3, v67, s6, -v65
	v_add_f32_e32 v2, v2, v0
	v_mov_b32_e32 v0, v68
	v_mul_f32_e32 v69, 0x3e903f40, v89
	v_add_f32_e32 v3, v3, v1
	v_fmac_f32_e32 v0, 0xbe11bafb, v38
	v_mov_b32_e32 v1, v69
	v_add_f32_e32 v0, v0, v8
	v_fmac_f32_e32 v1, 0xbf75a155, v45
	v_mul_f32_e32 v70, 0x3f68dda4, v90
	v_add_f32_e32 v0, v1, v0
	v_mov_b32_e32 v1, v70
	v_fmac_f32_e32 v1, 0x3ed4b147, v55
	v_mul_f32_e32 v71, 0xbf0a6770, v92
	v_add_f32_e32 v0, v1, v0
	v_mov_b32_e32 v1, v71
	;; [unrolled: 4-line block ×3, first 2 shown]
	v_fmac_f32_e32 v1, 0xbf27a4f4, v66
	v_mul_f32_e32 v73, 0xbf7d64f0, v4
	v_add_f32_e32 v0, v1, v0
	v_fma_f32 v1, v39, s5, -v73
	v_mul_f32_e32 v74, 0x3e903f40, v51
	v_add_f32_e32 v1, v1, v9
	v_fma_f32 v6, v46, s8, -v74
	;; [unrolled: 3-line block ×5, first 2 shown]
	v_mul_f32_e32 v78, 0xbf4178ce, v5
	v_add_f32_e32 v1, v6, v1
	v_mov_b32_e32 v6, v78
	v_mul_f32_e32 v79, 0x3f7d64f0, v89
	v_fmac_f32_e32 v6, 0xbf27a4f4, v38
	v_mov_b32_e32 v7, v79
	v_add_f32_e32 v6, v6, v8
	v_fmac_f32_e32 v7, 0xbe11bafb, v45
	v_mul_f32_e32 v82, 0xbf4178ce, v4
	v_add_f32_e32 v6, v7, v6
	v_fma_f32 v7, v39, s7, -v82
	v_mul_f32_e32 v83, 0x3f7d64f0, v51
	v_add_f32_e32 v7, v7, v9
	v_fma_f32 v80, v46, s5, -v83
	v_add_f32_e32 v7, v80, v7
	v_mul_f32_e32 v80, 0xbf0a6770, v90
	v_mov_b32_e32 v81, v80
	v_fmac_f32_e32 v81, 0x3f575c64, v55
	v_mul_f32_e32 v85, 0xbf0a6770, v91
	v_add_f32_e32 v6, v81, v6
	v_fma_f32 v81, v56, s6, -v85
	v_add_f32_e32 v7, v81, v7
	v_mul_f32_e32 v81, 0xbe903f40, v92
	v_mov_b32_e32 v84, v81
	v_fmac_f32_e32 v84, 0xbf75a155, v61
	;; [unrolled: 7-line block ×3, first 2 shown]
	v_mul_f32_e32 v87, 0x3f68dda4, v98
	v_add_f32_e32 v6, v88, v6
	v_mul_f32_e32 v88, 0xbe903f40, v5
	v_fma_f32 v93, v67, s4, -v87
	v_mov_b32_e32 v5, v88
	v_mul_f32_e32 v89, 0x3f0a6770, v89
	v_add_f32_e32 v7, v93, v7
	v_fmac_f32_e32 v5, 0xbf75a155, v38
	v_mov_b32_e32 v93, v89
	v_add_f32_e32 v5, v5, v8
	v_fmac_f32_e32 v93, 0x3f575c64, v45
	v_add_f32_e32 v5, v93, v5
	v_mul_f32_e32 v93, 0xbe903f40, v4
	v_fma_f32 v4, v39, s8, -v93
	v_mul_f32_e32 v94, 0x3f0a6770, v51
	v_add_f32_e32 v4, v4, v9
	v_fma_f32 v51, v46, s6, -v94
	v_mul_f32_e32 v90, 0xbf4178ce, v90
	v_add_f32_e32 v4, v51, v4
	v_mov_b32_e32 v51, v90
	v_fmac_f32_e32 v51, 0xbf27a4f4, v55
	v_mul_f32_e32 v95, 0xbf4178ce, v91
	v_add_f32_e32 v5, v51, v5
	v_fma_f32 v51, v56, s7, -v95
	v_mul_f32_e32 v91, 0x3f68dda4, v92
	v_add_f32_e32 v4, v51, v4
	v_mov_b32_e32 v51, v91
	v_fmac_f32_e32 v51, 0x3ed4b147, v61
	v_mul_f32_e32 v96, 0x3f68dda4, v96
	v_add_f32_e32 v5, v51, v5
	v_fma_f32 v51, v64, s4, -v96
	v_mul_f32_e32 v92, 0xbf7d64f0, v97
	v_add_f32_e32 v51, v51, v4
	v_mov_b32_e32 v4, v92
	v_mul_f32_e32 v97, 0xbf7d64f0, v98
	v_fmac_f32_e32 v4, 0xbe11bafb, v66
	v_add_f32_e32 v4, v4, v5
	v_fma_f32 v5, v67, s5, -v97
	v_add_f32_e32 v5, v5, v51
	v_mul_lo_u16_e32 v51, 11, v48
	s_barrier
	s_and_saveexec_b64 s[4:5], vcc
	s_cbranch_execz .LBB0_7
; %bb.6:
	v_mul_f32_e32 v98, 0x3f575c64, v38
	v_mul_f32_e32 v99, 0x3f575c64, v39
	;; [unrolled: 1-line block ×20, first 2 shown]
	v_add_f32_e32 v39, v93, v39
	v_sub_f32_e32 v38, v38, v88
	v_mul_f32_e32 v114, 0xbe11bafb, v55
	v_mul_f32_e32 v115, 0xbe11bafb, v56
	;; [unrolled: 1-line block ×10, first 2 shown]
	v_add_f32_e32 v46, v94, v46
	v_add_f32_e32 v39, v39, v9
	v_sub_f32_e32 v45, v45, v89
	v_add_f32_e32 v38, v38, v8
	v_mul_f32_e32 v122, 0xbf27a4f4, v61
	v_mul_f32_e32 v123, 0xbf27a4f4, v64
	;; [unrolled: 1-line block ×6, first 2 shown]
	v_add_f32_e32 v39, v46, v39
	v_mul_f32_e32 v126, 0xbf75a155, v61
	v_add_f32_e32 v46, v95, v56
	v_mul_f32_e32 v56, 0xbf75a155, v64
	v_mul_f32_e32 v61, 0x3ed4b147, v61
	;; [unrolled: 1-line block ×3, first 2 shown]
	v_add_f32_e32 v38, v45, v38
	v_sub_f32_e32 v45, v55, v90
	v_add_f32_e32 v39, v46, v39
	v_mul_f32_e32 v95, 0xbf75a155, v66
	v_add_f32_e32 v46, v96, v64
	v_mul_f32_e32 v96, 0x3f575c64, v66
	v_mul_f32_e32 v89, 0xbf27a4f4, v66
	;; [unrolled: 1-line block ×4, first 2 shown]
	v_add_f32_e32 v38, v45, v38
	v_sub_f32_e32 v45, v61, v91
	v_add_f32_e32 v39, v46, v39
	v_mul_f32_e32 v46, 0xbe11bafb, v67
	v_add_f32_e32 v38, v45, v38
	v_sub_f32_e32 v45, v66, v92
	v_add_f32_e32 v46, v97, v46
	v_add_f32_e32 v38, v45, v38
	;; [unrolled: 1-line block ×8, first 2 shown]
	v_mul_f32_e32 v64, 0xbf75a155, v67
	v_mul_f32_e32 v88, 0x3f575c64, v67
	;; [unrolled: 1-line block ×4, first 2 shown]
	v_add_f32_e32 v45, v46, v45
	v_add_f32_e32 v46, v86, v56
	;; [unrolled: 1-line block ×5, first 2 shown]
	v_sub_f32_e32 v45, v104, v78
	v_add_f32_e32 v45, v45, v8
	v_sub_f32_e32 v56, v112, v79
	v_add_f32_e32 v45, v56, v45
	;; [unrolled: 2-line block ×5, first 2 shown]
	v_add_f32_e32 v55, v73, v103
	v_add_f32_e32 v55, v55, v9
	;; [unrolled: 1-line block ×10, first 2 shown]
	v_sub_f32_e32 v55, v102, v68
	v_add_f32_e32 v58, v58, v101
	v_sub_f32_e32 v52, v100, v52
	v_add_f32_e32 v31, v31, v99
	v_sub_f32_e32 v30, v98, v30
	v_add_f32_e32 v55, v55, v8
	v_add_f32_e32 v58, v58, v9
	v_add_f32_e32 v52, v52, v8
	;; [unrolled: 1-line block ×15, first 2 shown]
	v_sub_f32_e32 v32, v106, v32
	v_add_f32_e32 v9, v13, v9
	v_add_f32_e32 v8, v12, v8
	v_sub_f32_e32 v61, v110, v69
	v_add_f32_e32 v59, v59, v109
	v_sub_f32_e32 v53, v108, v53
	v_add_f32_e32 v31, v33, v31
	v_add_f32_e32 v33, v35, v115
	v_add_f32_e32 v30, v32, v30
	v_sub_f32_e32 v32, v114, v34
	v_add_f32_e32 v9, v15, v9
	v_add_f32_e32 v8, v14, v8
	;; [unrolled: 4-line block ×10, first 2 shown]
	v_add_f32_e32 v9, v29, v9
	v_add_f32_e32 v8, v28, v8
	v_add_lshl_u32 v10, v50, v51, 3
	v_add_f32_e32 v55, v61, v55
	v_add_f32_e32 v58, v59, v58
	;; [unrolled: 1-line block ×3, first 2 shown]
	ds_write2_b64 v10, v[8:9], v[30:31] offset1:1
	ds_write2_b64 v10, v[57:58], v[55:56] offset0:2 offset1:3
	ds_write2_b64 v10, v[45:46], v[38:39] offset0:4 offset1:5
	;; [unrolled: 1-line block ×4, first 2 shown]
	ds_write_b64 v10, v[41:42] offset:80
.LBB0_7:
	s_or_b64 exec, exec, s[4:5]
	s_load_dwordx4 s[4:7], s[0:1], 0x0
	s_movk_i32 s0, 0x75
	v_mul_lo_u16_sdwa v8, v48, s0 dst_sel:DWORD dst_unused:UNUSED_PAD src0_sel:BYTE_0 src1_sel:DWORD
	v_sub_u16_sdwa v9, v48, v8 dst_sel:DWORD dst_unused:UNUSED_PAD src0_sel:DWORD src1_sel:BYTE_1
	v_lshrrev_b16_e32 v9, 1, v9
	v_and_b32_e32 v9, 0x7f, v9
	v_add_u16_sdwa v8, v9, v8 dst_sel:DWORD dst_unused:UNUSED_PAD src0_sel:DWORD src1_sel:BYTE_1
	v_lshrrev_b16_e32 v29, 3, v8
	v_mul_lo_u16_e32 v8, 11, v29
	v_sub_u16_e32 v8, v48, v8
	v_and_b32_e32 v30, 0xff, v8
	v_mad_u64_u32 v[16:17], s[0:1], v30, 40, s[2:3]
	s_waitcnt lgkmcnt(0)
	s_barrier
	global_load_dwordx4 v[12:15], v[16:17], off
	global_load_dwordx4 v[8:11], v[16:17], off offset:16
	global_load_dwordx2 v[43:44], v[16:17], off offset:32
	v_add_lshl_u32 v52, v50, v48, 3
	v_add_u32_e32 v16, 0x800, v52
	ds_read2_b64 v[17:20], v52 offset1:77
	ds_read2_b64 v[21:24], v52 offset0:154 offset1:231
	ds_read2_b64 v[25:28], v16 offset0:52 offset1:129
	v_mul_u32_u24_e32 v29, 0x42, v29
	v_add_u32_e32 v29, v29, v30
	v_add_lshl_u32 v53, v50, v29, 3
	s_movk_i32 s0, 0x42
	v_cmp_gt_u16_e64 s[0:1], s0, v48
	s_waitcnt vmcnt(0) lgkmcnt(0)
	s_barrier
	v_mul_f32_e32 v30, v19, v13
	v_mul_f32_e32 v31, v22, v15
	;; [unrolled: 1-line block ×10, first 2 shown]
	v_fmac_f32_e32 v30, v20, v12
	v_fma_f32 v20, v21, v14, -v31
	v_fmac_f32_e32 v32, v22, v14
	v_fma_f32 v21, v23, v8, -v33
	v_fmac_f32_e32 v34, v24, v8
	v_fmac_f32_e32 v36, v26, v10
	v_fma_f32 v23, v27, v43, -v37
	v_fmac_f32_e32 v38, v28, v43
	v_fma_f32 v19, v19, v12, -v29
	v_fma_f32 v22, v25, v10, -v35
	v_sub_f32_e32 v26, v32, v36
	v_add_f32_e32 v27, v18, v32
	v_add_f32_e32 v28, v32, v36
	;; [unrolled: 1-line block ×3, first 2 shown]
	v_sub_f32_e32 v32, v34, v38
	v_add_f32_e32 v33, v30, v34
	v_add_f32_e32 v34, v34, v38
	v_add_f32_e32 v25, v20, v22
	v_add_f32_e32 v29, v19, v21
	v_fmac_f32_e32 v19, -0.5, v31
	v_fmac_f32_e32 v30, -0.5, v34
	v_add_f32_e32 v24, v17, v20
	v_sub_f32_e32 v21, v21, v23
	v_fma_f32 v17, -0.5, v25, v17
	v_fma_f32 v18, -0.5, v28, v18
	v_add_f32_e32 v25, v33, v38
	v_mov_b32_e32 v31, v19
	v_mov_b32_e32 v33, v30
	v_sub_f32_e32 v20, v20, v22
	v_add_f32_e32 v22, v24, v22
	v_add_f32_e32 v23, v29, v23
	v_mov_b32_e32 v37, v18
	v_fmac_f32_e32 v19, 0xbf5db3d7, v32
	v_fmac_f32_e32 v30, 0x3f5db3d7, v21
	;; [unrolled: 1-line block ×4, first 2 shown]
	v_add_f32_e32 v24, v27, v36
	v_mov_b32_e32 v27, v17
	v_fmac_f32_e32 v18, 0x3f5db3d7, v20
	v_add_f32_e32 v28, v22, v23
	v_sub_f32_e32 v34, v22, v23
	v_fmac_f32_e32 v37, 0xbf5db3d7, v20
	v_mul_f32_e32 v20, -0.5, v19
	v_mul_f32_e32 v21, -0.5, v30
	v_mul_f32_e32 v22, 0x3f5db3d7, v33
	v_mul_f32_e32 v23, 0xbf5db3d7, v31
	v_fmac_f32_e32 v17, 0xbf5db3d7, v26
	v_fmac_f32_e32 v27, 0x3f5db3d7, v26
	;; [unrolled: 1-line block ×4, first 2 shown]
	v_fmac_f32_e32 v22, 0.5, v31
	v_fmac_f32_e32 v23, 0.5, v33
	v_add_f32_e32 v29, v24, v25
	v_sub_f32_e32 v35, v24, v25
	v_add_f32_e32 v32, v17, v20
	v_add_f32_e32 v33, v18, v21
	v_sub_f32_e32 v38, v17, v20
	v_sub_f32_e32 v39, v18, v21
	v_add_f32_e32 v30, v27, v22
	v_add_f32_e32 v31, v37, v23
	v_sub_f32_e32 v36, v27, v22
	v_sub_f32_e32 v37, v37, v23
	ds_write2_b64 v53, v[28:29], v[30:31] offset1:11
	ds_write2_b64 v53, v[32:33], v[34:35] offset0:22 offset1:33
	ds_write2_b64 v53, v[36:37], v[38:39] offset0:44 offset1:55
	s_waitcnt lgkmcnt(0)
	s_barrier
	s_and_saveexec_b64 s[8:9], s[0:1]
	s_cbranch_execz .LBB0_9
; %bb.8:
	ds_read2_b64 v[28:31], v52 offset1:66
	ds_read2_b64 v[32:35], v52 offset0:132 offset1:198
	ds_read2_b64 v[36:39], v16 offset0:8 offset1:74
	ds_read_b64 v[4:5], v52 offset:3168
.LBB0_9:
	s_or_b64 exec, exec, s[8:9]
	v_add_u32_e32 v16, 0xffffffbe, v48
	v_cndmask_b32_e64 v16, v16, v48, s[0:1]
	v_mul_hi_i32_i24_e32 v17, 48, v16
	v_mul_i32_i24_e32 v16, 48, v16
	v_mov_b32_e32 v18, s3
	v_add_co_u32_e64 v45, s[2:3], s2, v16
	v_addc_co_u32_e64 v46, s[2:3], v18, v17, s[2:3]
	global_load_dwordx4 v[16:19], v[45:46], off offset:440
	global_load_dwordx4 v[24:27], v[45:46], off offset:456
	;; [unrolled: 1-line block ×3, first 2 shown]
	s_mov_b32 s2, 0x3f5ff5aa
	s_mov_b32 s3, 0x3f3bfb3b
	;; [unrolled: 1-line block ×3, first 2 shown]
	s_waitcnt vmcnt(2) lgkmcnt(3)
	v_mul_f32_e32 v45, v31, v17
	v_mul_f32_e32 v46, v30, v17
	s_waitcnt lgkmcnt(2)
	v_mul_f32_e32 v54, v33, v19
	s_waitcnt vmcnt(1)
	v_mul_f32_e32 v56, v35, v25
	s_waitcnt vmcnt(0) lgkmcnt(1)
	v_mul_f32_e32 v60, v39, v21
	s_waitcnt lgkmcnt(0)
	v_mul_f32_e32 v62, v5, v23
	v_mul_f32_e32 v55, v32, v19
	;; [unrolled: 1-line block ×7, first 2 shown]
	v_fma_f32 v30, v30, v16, -v45
	v_fmac_f32_e32 v46, v31, v16
	v_fma_f32 v31, v32, v18, -v54
	v_fma_f32 v32, v34, v24, -v56
	;; [unrolled: 1-line block ×4, first 2 shown]
	v_fmac_f32_e32 v55, v33, v18
	v_fmac_f32_e32 v57, v35, v24
	v_fma_f32 v33, v36, v26, -v58
	v_fmac_f32_e32 v59, v37, v26
	v_fmac_f32_e32 v61, v39, v20
	;; [unrolled: 1-line block ×3, first 2 shown]
	v_add_f32_e32 v5, v30, v4
	v_add_f32_e32 v36, v31, v34
	v_add_f32_e32 v35, v46, v63
	v_add_f32_e32 v37, v55, v61
	v_sub_f32_e32 v31, v31, v34
	v_add_f32_e32 v38, v32, v33
	v_add_f32_e32 v39, v57, v59
	v_sub_f32_e32 v32, v33, v32
	v_add_f32_e32 v45, v36, v5
	v_sub_f32_e32 v4, v30, v4
	v_sub_f32_e32 v30, v46, v63
	;; [unrolled: 1-line block ×4, first 2 shown]
	v_add_f32_e32 v46, v37, v35
	v_sub_f32_e32 v54, v36, v5
	v_sub_f32_e32 v55, v37, v35
	;; [unrolled: 1-line block ×5, first 2 shown]
	v_add_f32_e32 v56, v32, v31
	v_sub_f32_e32 v58, v32, v31
	v_add_f32_e32 v38, v38, v45
	v_sub_f32_e32 v37, v39, v37
	;; [unrolled: 2-line block ×3, first 2 shown]
	v_sub_f32_e32 v32, v4, v32
	v_sub_f32_e32 v31, v31, v4
	v_add_f32_e32 v39, v39, v46
	v_add_f32_e32 v4, v56, v4
	v_mul_f32_e32 v5, 0x3f4a47b2, v5
	v_mul_f32_e32 v35, 0x3f4a47b2, v35
	;; [unrolled: 1-line block ×4, first 2 shown]
	v_add_f32_e32 v28, v28, v38
	v_sub_f32_e32 v33, v30, v33
	v_sub_f32_e32 v34, v34, v30
	v_add_f32_e32 v30, v57, v30
	v_mul_f32_e32 v46, 0x3d64c772, v37
	v_mul_f32_e32 v57, 0xbf08b237, v59
	v_mul_f32_e32 v58, 0x3f5ff5aa, v31
	v_add_f32_e32 v29, v29, v39
	v_fma_f32 v45, v54, s3, -v45
	v_fma_f32 v54, v54, s8, -v5
	v_fmac_f32_e32 v5, 0x3d64c772, v36
	v_fma_f32 v36, v55, s8, -v35
	v_fmac_f32_e32 v35, 0x3d64c772, v37
	v_fma_f32 v37, v31, s2, -v56
	v_mov_b32_e32 v31, v28
	v_mul_f32_e32 v59, 0x3f5ff5aa, v34
	v_fma_f32 v46, v55, s3, -v46
	v_mov_b32_e32 v55, v29
	v_fmac_f32_e32 v31, 0xbf955555, v38
	v_fma_f32 v38, v34, s2, -v57
	s_mov_b32 s2, 0xbeae86e6
	v_fmac_f32_e32 v55, 0xbf955555, v39
	v_fmac_f32_e32 v56, 0x3eae86e6, v32
	v_fmac_f32_e32 v57, 0x3eae86e6, v33
	v_fma_f32 v39, v32, s2, -v58
	v_fma_f32 v58, v33, s2, -v59
	v_add_f32_e32 v5, v5, v31
	v_add_f32_e32 v59, v35, v55
	;; [unrolled: 1-line block ×6, first 2 shown]
	v_fmac_f32_e32 v56, 0x3ee1c552, v4
	v_fmac_f32_e32 v57, 0x3ee1c552, v30
	;; [unrolled: 1-line block ×6, first 2 shown]
	v_add_f32_e32 v30, v57, v5
	v_sub_f32_e32 v31, v59, v56
	v_add_f32_e32 v32, v58, v54
	v_sub_f32_e32 v33, v55, v39
	v_sub_f32_e32 v34, v45, v38
	v_add_f32_e32 v35, v37, v46
	v_add_f32_e32 v36, v38, v45
	v_sub_f32_e32 v37, v46, v37
	v_sub_f32_e32 v38, v54, v58
	v_add_f32_e32 v39, v39, v55
	v_sub_f32_e32 v4, v5, v57
	v_add_f32_e32 v5, v56, v59
	s_and_saveexec_b64 s[2:3], s[0:1]
	s_cbranch_execz .LBB0_11
; %bb.10:
	v_lshl_add_u32 v45, v50, 3, v47
	v_add_u32_e32 v46, 0x800, v45
	ds_write2_b64 v45, v[28:29], v[30:31] offset1:66
	ds_write2_b64 v45, v[32:33], v[34:35] offset0:132 offset1:198
	ds_write2_b64 v46, v[36:37], v[38:39] offset0:8 offset1:74
	ds_write_b64 v45, v[4:5] offset:3168
.LBB0_11:
	s_or_b64 exec, exec, s[2:3]
	s_waitcnt lgkmcnt(0)
	s_barrier
	s_and_saveexec_b64 s[2:3], vcc
	s_cbranch_execz .LBB0_13
; %bb.12:
	global_load_dwordx2 v[45:46], v47, s[12:13] offset:3696
	s_add_u32 s8, s12, 0xe70
	s_addc_u32 s9, s13, 0
	global_load_dwordx2 v[74:75], v47, s[8:9] offset:336
	global_load_dwordx2 v[76:77], v47, s[8:9] offset:672
	;; [unrolled: 1-line block ×10, first 2 shown]
	v_lshl_add_u32 v58, v48, 3, v49
	ds_read_b64 v[54:55], v58
	v_add_u32_e32 v94, v49, v47
	v_add_u32_e32 v95, 0x800, v94
	s_waitcnt vmcnt(10) lgkmcnt(0)
	v_mul_f32_e32 v56, v55, v46
	v_mul_f32_e32 v57, v54, v46
	v_fma_f32 v56, v54, v45, -v56
	v_fmac_f32_e32 v57, v55, v45
	ds_write_b64 v58, v[56:57]
	ds_read2_b64 v[54:57], v94 offset0:42 offset1:84
	ds_read2_b64 v[58:61], v94 offset0:126 offset1:168
	;; [unrolled: 1-line block ×5, first 2 shown]
	s_waitcnt vmcnt(9) lgkmcnt(4)
	v_mul_f32_e32 v45, v55, v75
	v_mul_f32_e32 v46, v54, v75
	s_waitcnt vmcnt(8)
	v_mul_f32_e32 v96, v57, v77
	v_mul_f32_e32 v75, v56, v77
	s_waitcnt vmcnt(7) lgkmcnt(3)
	v_mul_f32_e32 v97, v59, v79
	v_mul_f32_e32 v77, v58, v79
	s_waitcnt vmcnt(6)
	v_mul_f32_e32 v98, v61, v81
	v_mul_f32_e32 v79, v60, v81
	;; [unrolled: 6-line block ×5, first 2 shown]
	v_fma_f32 v45, v54, v74, -v45
	v_fmac_f32_e32 v46, v55, v74
	v_fma_f32 v74, v56, v76, -v96
	v_fmac_f32_e32 v75, v57, v76
	;; [unrolled: 2-line block ×10, first 2 shown]
	ds_write2_b64 v94, v[45:46], v[74:75] offset0:42 offset1:84
	ds_write2_b64 v94, v[76:77], v[78:79] offset0:126 offset1:168
	;; [unrolled: 1-line block ×5, first 2 shown]
.LBB0_13:
	s_or_b64 exec, exec, s[2:3]
	s_waitcnt lgkmcnt(0)
	s_barrier
	s_and_saveexec_b64 s[2:3], vcc
	s_cbranch_execz .LBB0_15
; %bb.14:
	v_lshl_add_u32 v41, v50, 3, v47
	v_add_u32_e32 v0, 0x400, v41
	ds_read2_b64 v[28:31], v41 offset1:42
	ds_read2_b64 v[32:35], v41 offset0:84 offset1:126
	ds_read2_b64 v[36:39], v41 offset0:168 offset1:210
	;; [unrolled: 1-line block ×3, first 2 shown]
	v_add_u32_e32 v0, 0x800, v41
	ds_read2_b64 v[0:3], v0 offset0:80 offset1:122
	ds_read_b64 v[41:42], v41 offset:3360
.LBB0_15:
	s_or_b64 exec, exec, s[2:3]
	s_waitcnt lgkmcnt(0)
	v_sub_f32_e32 v64, v31, v42
	v_add_f32_e32 v54, v41, v30
	v_add_f32_e32 v67, v42, v31
	s_mov_b32 s8, 0xbf75a155
	v_mul_f32_e32 v74, 0xbe903f40, v64
	v_sub_f32_e32 v65, v33, v3
	v_mul_f32_e32 v76, 0xbf75a155, v67
	v_fma_f32 v45, v54, s8, -v74
	v_add_f32_e32 v55, v2, v32
	v_add_f32_e32 v69, v3, v33
	s_mov_b32 s9, 0x3f575c64
	v_mul_f32_e32 v75, 0x3f0a6770, v65
	v_sub_f32_e32 v56, v30, v41
	v_add_f32_e32 v45, v28, v45
	v_mov_b32_e32 v46, v76
	v_mul_f32_e32 v78, 0x3f575c64, v69
	v_fma_f32 v57, v55, s9, -v75
	v_fmac_f32_e32 v46, 0xbe903f40, v56
	v_sub_f32_e32 v58, v32, v2
	v_add_f32_e32 v45, v57, v45
	v_mov_b32_e32 v57, v78
	v_add_f32_e32 v46, v29, v46
	v_fmac_f32_e32 v57, 0x3f0a6770, v58
	v_sub_f32_e32 v66, v35, v1
	v_add_f32_e32 v46, v57, v46
	v_add_f32_e32 v57, v0, v34
	v_add_f32_e32 v71, v1, v35
	s_mov_b32 s10, 0xbf27a4f4
	v_mul_f32_e32 v77, 0xbf4178ce, v66
	v_mul_f32_e32 v80, 0xbf27a4f4, v71
	v_fma_f32 v59, v57, s10, -v77
	v_sub_f32_e32 v60, v34, v0
	v_add_f32_e32 v45, v59, v45
	v_mov_b32_e32 v59, v80
	v_fmac_f32_e32 v59, 0xbf4178ce, v60
	v_sub_f32_e32 v68, v37, v7
	v_add_f32_e32 v46, v59, v46
	v_add_f32_e32 v59, v6, v36
	v_add_f32_e32 v72, v7, v37
	s_mov_b32 s11, 0x3ed4b147
	v_mul_f32_e32 v79, 0x3f68dda4, v68
	v_mul_f32_e32 v82, 0x3ed4b147, v72
	v_fma_f32 v61, v59, s11, -v79
	v_sub_f32_e32 v62, v36, v6
	v_add_f32_e32 v45, v61, v45
	v_mov_b32_e32 v61, v82
	;; [unrolled: 12-line block ×3, first 2 shown]
	v_fmac_f32_e32 v84, 0xbf7d64f0, v63
	v_add_f32_e32 v46, v84, v46
	s_barrier
	s_and_saveexec_b64 s[2:3], vcc
	s_cbranch_execz .LBB0_17
; %bb.16:
	v_mul_f32_e32 v84, 0xbf75a155, v54
	v_mul_f32_e32 v86, 0x3f575c64, v55
	v_add_f32_e32 v74, v84, v74
	v_mul_f32_e32 v85, 0xbe903f40, v56
	v_mul_f32_e32 v88, 0xbf27a4f4, v57
	v_add_f32_e32 v74, v28, v74
	v_add_f32_e32 v75, v86, v75
	v_mul_f32_e32 v87, 0x3f0a6770, v58
	v_mul_f32_e32 v90, 0x3ed4b147, v59
	v_sub_f32_e32 v76, v76, v85
	v_add_f32_e32 v74, v75, v74
	v_add_f32_e32 v75, v88, v77
	v_mul_f32_e32 v89, 0xbf4178ce, v60
	v_mul_f32_e32 v92, 0xbe11bafb, v61
	v_add_f32_e32 v76, v29, v76
	v_sub_f32_e32 v78, v78, v87
	v_add_f32_e32 v74, v75, v74
	v_add_f32_e32 v75, v90, v79
	v_mul_f32_e32 v91, 0x3f68dda4, v62
	v_add_f32_e32 v76, v78, v76
	v_sub_f32_e32 v78, v80, v89
	v_add_f32_e32 v74, v75, v74
	v_add_f32_e32 v75, v92, v81
	v_mul_f32_e32 v93, 0xbf7d64f0, v63
	v_add_f32_e32 v76, v78, v76
	v_sub_f32_e32 v78, v82, v91
	v_add_f32_e32 v75, v75, v74
	v_mul_f32_e32 v74, 0xbf27a4f4, v67
	v_add_f32_e32 v76, v78, v76
	v_sub_f32_e32 v78, v83, v93
	v_mov_b32_e32 v77, v74
	v_mul_f32_e32 v83, 0xbe11bafb, v69
	v_add_f32_e32 v76, v78, v76
	v_fmac_f32_e32 v77, 0x3f4178ce, v56
	v_mov_b32_e32 v78, v83
	v_add_f32_e32 v77, v29, v77
	v_fmac_f32_e32 v78, 0xbf7d64f0, v58
	v_mul_f32_e32 v84, 0x3f575c64, v71
	v_add_f32_e32 v77, v78, v77
	v_mov_b32_e32 v78, v84
	v_fmac_f32_e32 v78, 0x3f0a6770, v60
	v_mul_f32_e32 v85, 0xbf75a155, v72
	v_add_f32_e32 v77, v78, v77
	v_mov_b32_e32 v78, v85
	v_fmac_f32_e32 v78, 0x3e903f40, v62
	v_mul_f32_e32 v86, 0x3ed4b147, v73
	v_add_f32_e32 v77, v78, v77
	v_mov_b32_e32 v78, v86
	v_fmac_f32_e32 v78, 0xbf68dda4, v63
	v_mul_f32_e32 v87, 0xbf4178ce, v64
	v_add_f32_e32 v78, v78, v77
	v_mov_b32_e32 v77, v87
	v_mul_f32_e32 v88, 0x3f7d64f0, v65
	v_fmac_f32_e32 v77, 0xbf27a4f4, v54
	v_mov_b32_e32 v79, v88
	v_add_f32_e32 v77, v28, v77
	v_fmac_f32_e32 v79, 0xbe11bafb, v55
	v_mul_f32_e32 v89, 0xbf0a6770, v66
	v_add_f32_e32 v77, v79, v77
	v_mov_b32_e32 v79, v89
	v_fmac_f32_e32 v79, 0x3f575c64, v57
	v_mul_f32_e32 v90, 0xbe903f40, v68
	v_add_f32_e32 v77, v79, v77
	v_mov_b32_e32 v79, v90
	v_fmac_f32_e32 v79, 0xbf75a155, v59
	v_mul_f32_e32 v91, 0x3f68dda4, v70
	v_add_f32_e32 v77, v79, v77
	v_mov_b32_e32 v79, v91
	v_fmac_f32_e32 v79, 0x3ed4b147, v61
	v_mul_f32_e32 v92, 0xbe11bafb, v67
	v_add_f32_e32 v77, v79, v77
	v_mov_b32_e32 v79, v92
	v_mul_f32_e32 v93, 0xbf75a155, v69
	;; [unrolled: 20-line block ×3, first 2 shown]
	v_fmac_f32_e32 v79, 0xbe11bafb, v54
	v_mov_b32_e32 v81, v98
	v_add_f32_e32 v79, v28, v79
	v_fmac_f32_e32 v81, 0xbf75a155, v55
	v_mul_f32_e32 v99, 0x3f68dda4, v66
	v_add_f32_e32 v31, v31, v29
	v_add_f32_e32 v79, v81, v79
	v_mov_b32_e32 v81, v99
	v_add_f32_e32 v31, v33, v31
	v_fmac_f32_e32 v81, 0x3ed4b147, v57
	v_mul_f32_e32 v100, 0xbf0a6770, v68
	v_add_f32_e32 v31, v35, v31
	v_add_f32_e32 v79, v81, v79
	;; [unrolled: 6-line block ×4, first 2 shown]
	v_mov_b32_e32 v81, v102
	v_mul_f32_e32 v103, 0xbf27a4f4, v69
	v_add_f32_e32 v1, v1, v5
	v_fmac_f32_e32 v81, 0x3f68dda4, v56
	v_mov_b32_e32 v82, v103
	v_add_f32_e32 v1, v3, v1
	v_add_f32_e32 v3, v30, v28
	;; [unrolled: 1-line block ×3, first 2 shown]
	v_fmac_f32_e32 v82, 0x3f4178ce, v58
	v_mul_f32_e32 v104, 0xbf75a155, v71
	v_add_f32_e32 v3, v32, v3
	v_add_f32_e32 v81, v82, v81
	v_mov_b32_e32 v82, v104
	v_add_f32_e32 v3, v34, v3
	v_fmac_f32_e32 v82, 0xbe903f40, v60
	v_mul_f32_e32 v105, 0xbe11bafb, v72
	v_add_f32_e32 v3, v36, v3
	v_add_f32_e32 v81, v82, v81
	v_mov_b32_e32 v82, v105
	v_add_f32_e32 v3, v38, v3
	;; [unrolled: 6-line block ×3, first 2 shown]
	v_fmac_f32_e32 v82, 0xbf0a6770, v63
	v_mul_f32_e32 v107, 0xbf68dda4, v64
	v_add_f32_e32 v0, v0, v3
	v_fmac_f32_e32 v74, 0xbf4178ce, v56
	v_add_f32_e32 v82, v82, v81
	v_mov_b32_e32 v81, v107
	v_mul_f32_e32 v108, 0xbf4178ce, v65
	v_add_f32_e32 v0, v2, v0
	v_add_f32_e32 v2, v29, v74
	v_fmac_f32_e32 v83, 0x3f7d64f0, v58
	v_fmac_f32_e32 v81, 0x3ed4b147, v54
	v_mov_b32_e32 v109, v108
	v_add_f32_e32 v2, v83, v2
	v_fmac_f32_e32 v84, 0xbf0a6770, v60
	v_add_f32_e32 v81, v28, v81
	v_fmac_f32_e32 v109, 0xbf27a4f4, v55
	;; [unrolled: 2-line block ×3, first 2 shown]
	v_add_f32_e32 v81, v109, v81
	v_mul_f32_e32 v109, 0x3e903f40, v66
	v_add_f32_e32 v2, v85, v2
	v_fmac_f32_e32 v86, 0x3f68dda4, v63
	v_mov_b32_e32 v110, v109
	v_add_f32_e32 v3, v86, v2
	v_fma_f32 v2, v54, s10, -v87
	v_fmac_f32_e32 v110, 0xbf75a155, v57
	v_add_f32_e32 v2, v28, v2
	v_fma_f32 v4, v55, s16, -v88
	v_add_f32_e32 v81, v110, v81
	v_mul_f32_e32 v110, 0x3f7d64f0, v68
	v_add_f32_e32 v2, v4, v2
	v_fma_f32 v4, v57, s9, -v89
	v_mov_b32_e32 v111, v110
	v_add_f32_e32 v2, v4, v2
	v_fma_f32 v4, v59, s8, -v90
	v_fmac_f32_e32 v111, 0xbe11bafb, v59
	v_add_f32_e32 v2, v4, v2
	v_fma_f32 v4, v61, s11, -v91
	v_fmac_f32_e32 v92, 0xbf7d64f0, v56
	v_add_f32_e32 v81, v111, v81
	v_mul_f32_e32 v111, 0x3f0a6770, v70
	v_add_f32_e32 v2, v4, v2
	v_add_f32_e32 v4, v29, v92
	v_fmac_f32_e32 v93, 0x3e903f40, v58
	v_mov_b32_e32 v112, v111
	v_add_f32_e32 v4, v93, v4
	v_fmac_f32_e32 v94, 0x3f68dda4, v60
	v_fmac_f32_e32 v112, 0x3f575c64, v61
	v_add_f32_e32 v4, v94, v4
	v_fmac_f32_e32 v95, 0xbf0a6770, v62
	v_add_f32_e32 v81, v112, v81
	v_mul_f32_e32 v112, 0x3f575c64, v67
	v_add_f32_e32 v4, v95, v4
	v_fmac_f32_e32 v96, 0xbf4178ce, v63
	v_mov_b32_e32 v67, v112
	v_mul_f32_e32 v69, 0x3ed4b147, v69
	v_add_f32_e32 v5, v96, v4
	v_fma_f32 v4, v54, s16, -v97
	v_fmac_f32_e32 v67, 0x3f0a6770, v56
	v_mov_b32_e32 v113, v69
	v_add_f32_e32 v4, v28, v4
	v_fma_f32 v6, v55, s8, -v98
	v_add_f32_e32 v67, v29, v67
	v_fmac_f32_e32 v113, 0x3f68dda4, v58
	v_mul_f32_e32 v71, 0xbe11bafb, v71
	v_add_f32_e32 v4, v6, v4
	v_fma_f32 v6, v57, s11, -v99
	v_add_f32_e32 v67, v113, v67
	v_mov_b32_e32 v113, v71
	v_add_f32_e32 v4, v6, v4
	v_fma_f32 v6, v59, s9, -v100
	v_fmac_f32_e32 v113, 0x3f7d64f0, v60
	v_mul_f32_e32 v72, 0xbf27a4f4, v72
	v_add_f32_e32 v4, v6, v4
	v_fma_f32 v6, v61, s10, -v101
	v_fmac_f32_e32 v102, 0xbf68dda4, v56
	v_add_f32_e32 v67, v113, v67
	v_mov_b32_e32 v113, v72
	v_add_f32_e32 v4, v6, v4
	v_add_f32_e32 v6, v29, v102
	v_fmac_f32_e32 v103, 0xbf4178ce, v58
	v_fmac_f32_e32 v113, 0x3f4178ce, v62
	v_mul_f32_e32 v73, 0xbf75a155, v73
	v_add_f32_e32 v6, v103, v6
	v_fmac_f32_e32 v104, 0x3e903f40, v60
	v_add_f32_e32 v67, v113, v67
	v_mov_b32_e32 v113, v73
	v_add_f32_e32 v6, v104, v6
	v_fmac_f32_e32 v105, 0x3f7d64f0, v62
	v_fmac_f32_e32 v113, 0x3e903f40, v63
	v_mul_f32_e32 v64, 0xbf0a6770, v64
	v_add_f32_e32 v6, v105, v6
	v_fmac_f32_e32 v106, 0x3f0a6770, v63
	v_add_f32_e32 v67, v113, v67
	v_mov_b32_e32 v113, v64
	v_mul_f32_e32 v65, 0xbf68dda4, v65
	v_add_f32_e32 v7, v106, v6
	v_fma_f32 v6, v54, s11, -v107
	v_fmac_f32_e32 v113, 0x3f575c64, v54
	v_mov_b32_e32 v114, v65
	v_add_f32_e32 v6, v28, v6
	v_fma_f32 v30, v55, s10, -v108
	v_add_f32_e32 v113, v28, v113
	v_fmac_f32_e32 v114, 0x3ed4b147, v55
	v_add_f32_e32 v6, v30, v6
	v_fma_f32 v30, v57, s8, -v109
	v_add_f32_e32 v113, v114, v113
	v_mul_f32_e32 v114, 0xbf7d64f0, v66
	v_add_f32_e32 v6, v30, v6
	v_fma_f32 v30, v59, s16, -v110
	v_mov_b32_e32 v66, v114
	v_add_f32_e32 v6, v30, v6
	v_fma_f32 v30, v61, s9, -v111
	v_fmac_f32_e32 v66, 0xbe11bafb, v57
	v_mul_f32_e32 v68, 0xbf4178ce, v68
	v_add_f32_e32 v6, v30, v6
	v_fma_f32 v30, v54, s9, -v64
	v_add_f32_e32 v66, v66, v113
	v_mov_b32_e32 v113, v68
	v_fmac_f32_e32 v112, 0xbf0a6770, v56
	v_add_f32_e32 v28, v28, v30
	v_fma_f32 v30, v55, s11, -v65
	v_fmac_f32_e32 v113, 0xbf27a4f4, v59
	v_mul_f32_e32 v70, 0xbe903f40, v70
	v_add_f32_e32 v29, v29, v112
	v_fmac_f32_e32 v69, 0xbf68dda4, v58
	v_add_f32_e32 v28, v30, v28
	v_fma_f32 v30, v57, s16, -v114
	v_add_f32_e32 v66, v113, v66
	v_mov_b32_e32 v113, v70
	v_add_f32_e32 v29, v69, v29
	v_fmac_f32_e32 v71, 0xbf7d64f0, v60
	v_add_f32_e32 v28, v30, v28
	v_fma_f32 v30, v59, s10, -v68
	v_fmac_f32_e32 v113, 0xbf75a155, v61
	v_add_f32_e32 v29, v71, v29
	v_fmac_f32_e32 v72, 0xbf4178ce, v62
	v_add_f32_e32 v28, v30, v28
	v_fma_f32 v30, v61, s8, -v70
	v_add_f32_e32 v66, v113, v66
	v_add_f32_e32 v1, v42, v1
	;; [unrolled: 1-line block ×4, first 2 shown]
	v_fmac_f32_e32 v73, 0xbe903f40, v63
	v_add_f32_e32 v28, v30, v28
	v_add_lshl_u32 v30, v50, v51, 3
	v_add_f32_e32 v29, v73, v29
	ds_write2_b64 v30, v[0:1], v[66:67] offset1:1
	ds_write2_b64 v30, v[81:82], v[79:80] offset0:2 offset1:3
	ds_write2_b64 v30, v[77:78], v[75:76] offset0:4 offset1:5
	;; [unrolled: 1-line block ×4, first 2 shown]
	ds_write_b64 v30, v[28:29] offset:80
.LBB0_17:
	s_or_b64 exec, exec, s[2:3]
	s_waitcnt lgkmcnt(0)
	s_barrier
	ds_read2_b64 v[0:3], v52 offset1:77
	ds_read2_b64 v[4:7], v52 offset0:154 offset1:231
	v_add_u32_e32 v28, 0x800, v52
	ds_read2_b64 v[29:32], v28 offset0:52 offset1:129
	s_waitcnt lgkmcnt(0)
	v_mul_f32_e32 v33, v13, v3
	v_fmac_f32_e32 v33, v12, v2
	v_mul_f32_e32 v2, v13, v2
	v_fma_f32 v12, v12, v3, -v2
	v_mul_f32_e32 v2, v15, v5
	v_fmac_f32_e32 v2, v14, v4
	v_mul_f32_e32 v3, v15, v4
	v_mul_f32_e32 v4, v9, v7
	v_fma_f32 v3, v14, v5, -v3
	v_fmac_f32_e32 v4, v8, v6
	v_mul_f32_e32 v5, v9, v6
	v_mul_f32_e32 v6, v11, v30
	v_fmac_f32_e32 v6, v10, v29
	v_fma_f32 v5, v8, v7, -v5
	v_mul_f32_e32 v7, v11, v29
	v_add_f32_e32 v11, v2, v6
	v_fma_f32 v7, v10, v30, -v7
	v_fma_f32 v11, -0.5, v11, v0
	v_add_f32_e32 v10, v0, v2
	v_sub_f32_e32 v0, v3, v7
	v_mov_b32_e32 v13, v11
	v_fmac_f32_e32 v13, 0xbf5db3d7, v0
	v_fmac_f32_e32 v11, 0x3f5db3d7, v0
	v_add_f32_e32 v0, v1, v3
	v_add_f32_e32 v14, v0, v7
	;; [unrolled: 1-line block ×3, first 2 shown]
	v_fma_f32 v15, -0.5, v0, v1
	v_mul_f32_e32 v8, v44, v32
	v_sub_f32_e32 v0, v2, v6
	v_mov_b32_e32 v29, v15
	v_fmac_f32_e32 v8, v43, v31
	v_fmac_f32_e32 v29, 0x3f5db3d7, v0
	;; [unrolled: 1-line block ×3, first 2 shown]
	v_add_f32_e32 v0, v33, v4
	v_mul_f32_e32 v9, v44, v31
	v_add_f32_e32 v10, v10, v6
	v_add_f32_e32 v6, v0, v8
	;; [unrolled: 1-line block ×3, first 2 shown]
	v_fma_f32 v9, v43, v32, -v9
	v_fmac_f32_e32 v33, -0.5, v0
	v_sub_f32_e32 v0, v5, v9
	v_mov_b32_e32 v3, v33
	v_fmac_f32_e32 v3, 0xbf5db3d7, v0
	v_fmac_f32_e32 v33, 0x3f5db3d7, v0
	v_add_f32_e32 v0, v12, v5
	v_add_f32_e32 v7, v0, v9
	;; [unrolled: 1-line block ×3, first 2 shown]
	v_fmac_f32_e32 v12, -0.5, v0
	v_sub_f32_e32 v0, v4, v8
	v_mov_b32_e32 v5, v12
	v_fmac_f32_e32 v5, 0x3f5db3d7, v0
	v_fmac_f32_e32 v12, 0xbf5db3d7, v0
	v_mul_f32_e32 v8, 0xbf5db3d7, v5
	v_mul_f32_e32 v9, 0xbf5db3d7, v12
	v_mul_f32_e32 v30, 0.5, v5
	v_mul_f32_e32 v12, -0.5, v12
	v_fmac_f32_e32 v8, 0.5, v3
	v_fmac_f32_e32 v9, -0.5, v33
	v_fmac_f32_e32 v30, 0x3f5db3d7, v3
	v_fmac_f32_e32 v12, 0x3f5db3d7, v33
	v_add_f32_e32 v0, v10, v6
	v_add_f32_e32 v2, v13, v8
	;; [unrolled: 1-line block ×6, first 2 shown]
	v_sub_f32_e32 v6, v10, v6
	v_sub_f32_e32 v8, v13, v8
	;; [unrolled: 1-line block ×6, first 2 shown]
	s_barrier
	ds_write2_b64 v53, v[0:1], v[2:3] offset1:11
	ds_write2_b64 v53, v[4:5], v[6:7] offset0:22 offset1:33
	ds_write2_b64 v53, v[8:9], v[10:11] offset0:44 offset1:55
	s_waitcnt lgkmcnt(0)
	s_barrier
	s_and_saveexec_b64 s[2:3], s[0:1]
	s_cbranch_execz .LBB0_19
; %bb.18:
	ds_read2_b64 v[0:3], v52 offset1:66
	ds_read2_b64 v[4:7], v52 offset0:132 offset1:198
	ds_read2_b64 v[8:11], v28 offset0:8 offset1:74
	ds_read_b64 v[45:46], v52 offset:3168
.LBB0_19:
	s_or_b64 exec, exec, s[2:3]
	s_and_saveexec_b64 s[2:3], s[0:1]
	s_cbranch_execz .LBB0_21
; %bb.20:
	s_waitcnt lgkmcnt(3)
	v_mul_f32_e32 v12, v17, v3
	s_waitcnt lgkmcnt(0)
	v_mul_f32_e32 v13, v23, v46
	v_mul_f32_e32 v15, v27, v9
	;; [unrolled: 1-line block ×3, first 2 shown]
	v_fmac_f32_e32 v12, v16, v2
	v_fmac_f32_e32 v13, v22, v45
	;; [unrolled: 1-line block ×4, first 2 shown]
	v_sub_f32_e32 v14, v12, v13
	v_mul_f32_e32 v31, v19, v5
	v_mul_f32_e32 v32, v21, v11
	v_mul_f32_e32 v2, v17, v2
	v_add_f32_e32 v12, v13, v12
	v_add_f32_e32 v13, v15, v28
	v_sub_f32_e32 v29, v15, v28
	v_fmac_f32_e32 v31, v18, v4
	v_fmac_f32_e32 v32, v20, v10
	v_fma_f32 v2, v16, v3, -v2
	v_mul_f32_e32 v3, v25, v6
	v_mul_f32_e32 v4, v19, v4
	v_sub_f32_e32 v15, v12, v13
	v_fma_f32 v6, v24, v7, -v3
	v_mul_f32_e32 v3, v27, v8
	v_fma_f32 v4, v18, v5, -v4
	v_mul_f32_e32 v15, 0x3f4a47b2, v15
	v_add_f32_e32 v18, v32, v31
	v_mul_f32_e32 v23, v23, v45
	v_fma_f32 v7, v26, v9, -v3
	v_mul_f32_e32 v9, v21, v10
	v_sub_f32_e32 v19, v13, v18
	v_mov_b32_e32 v21, v15
	v_fma_f32 v22, v22, v46, -v23
	v_fma_f32 v9, v20, v11, -v9
	v_mul_f32_e32 v20, 0x3d64c772, v19
	v_fmac_f32_e32 v21, 0x3d64c772, v19
	v_add_f32_e32 v19, v18, v12
	v_add_f32_e32 v16, v22, v2
	;; [unrolled: 1-line block ×4, first 2 shown]
	v_sub_f32_e32 v8, v16, v3
	v_add_f32_e32 v0, v0, v13
	v_mul_f32_e32 v8, 0x3f4a47b2, v8
	v_add_f32_e32 v5, v9, v4
	v_mov_b32_e32 v19, v0
	v_sub_f32_e32 v10, v3, v5
	v_mov_b32_e32 v17, v8
	v_fmac_f32_e32 v19, 0xbf955555, v13
	v_sub_f32_e32 v13, v2, v22
	v_sub_f32_e32 v2, v7, v6
	;; [unrolled: 1-line block ×4, first 2 shown]
	v_mul_f32_e32 v11, 0x3d64c772, v10
	v_fmac_f32_e32 v17, 0x3d64c772, v10
	v_add_f32_e32 v10, v5, v16
	v_sub_f32_e32 v6, v13, v2
	v_sub_f32_e32 v7, v2, v4
	v_add_f32_e32 v2, v2, v4
	v_sub_f32_e32 v30, v14, v29
	v_sub_f32_e32 v34, v29, v33
	v_add_f32_e32 v29, v29, v33
	v_add_f32_e32 v3, v3, v10
	v_mul_f32_e32 v9, 0x3f08b237, v7
	v_add_f32_e32 v23, v2, v13
	v_sub_f32_e32 v7, v33, v14
	v_sub_f32_e32 v16, v5, v16
	s_mov_b32 s8, 0xbf3bfb3b
	v_sub_f32_e32 v13, v4, v13
	v_add_f32_e32 v29, v29, v14
	v_add_f32_e32 v1, v1, v3
	v_mul_f32_e32 v14, 0xbf5ff5aa, v7
	s_mov_b32 s1, 0x3eae86e6
	v_fma_f32 v5, v16, s8, -v8
	v_sub_f32_e32 v8, v18, v12
	v_mul_f32_e32 v4, 0xbf5ff5aa, v13
	v_mul_f32_e32 v34, 0x3f08b237, v34
	v_mov_b32_e32 v10, v1
	v_mov_b32_e32 v22, v9
	v_fma_f32 v14, v30, s1, -v14
	v_fma_f32 v12, v8, s8, -v15
	;; [unrolled: 1-line block ×3, first 2 shown]
	s_mov_b32 s1, 0x3f3bfb3b
	v_mov_b32_e32 v35, v34
	v_fmac_f32_e32 v10, 0xbf955555, v3
	v_fmac_f32_e32 v22, 0xbeae86e6, v6
	s_mov_b32 s0, 0xbf5ff5aa
	v_fma_f32 v6, v16, s1, -v11
	v_fmac_f32_e32 v35, 0xbeae86e6, v30
	v_add_f32_e32 v17, v17, v10
	v_add_f32_e32 v24, v5, v10
	;; [unrolled: 1-line block ×3, first 2 shown]
	v_fma_f32 v11, v7, s0, -v34
	v_fma_f32 v13, v13, s0, -v9
	;; [unrolled: 1-line block ×3, first 2 shown]
	v_fmac_f32_e32 v35, 0xbee1c552, v29
	v_add_f32_e32 v21, v21, v19
	v_fmac_f32_e32 v22, 0xbee1c552, v23
	v_fmac_f32_e32 v14, 0xbee1c552, v29
	v_add_f32_e32 v12, v12, v19
	v_fmac_f32_e32 v15, 0xbee1c552, v23
	v_fmac_f32_e32 v11, 0xbee1c552, v29
	;; [unrolled: 1-line block ×3, first 2 shown]
	v_add_f32_e32 v8, v6, v19
	v_add_f32_e32 v5, v14, v24
	v_sub_f32_e32 v4, v12, v15
	v_sub_f32_e32 v7, v10, v11
	v_add_f32_e32 v6, v13, v8
	v_add_f32_e32 v9, v11, v10
	v_sub_f32_e32 v8, v8, v13
	v_sub_f32_e32 v11, v24, v14
	v_add_f32_e32 v10, v15, v12
	v_sub_f32_e32 v13, v17, v35
	v_add_f32_e32 v12, v22, v21
	v_lshl_add_u32 v14, v50, 3, v47
	ds_write2_b64 v14, v[0:1], v[12:13] offset1:66
	ds_write2_b64 v14, v[10:11], v[8:9] offset0:132 offset1:198
	v_add_u32_e32 v0, 0x800, v14
	v_add_f32_e32 v3, v35, v17
	v_sub_f32_e32 v2, v21, v22
	ds_write2_b64 v0, v[6:7], v[4:5] offset0:8 offset1:74
	ds_write_b64 v14, v[2:3] offset:3168
.LBB0_21:
	s_or_b64 exec, exec, s[2:3]
	s_waitcnt lgkmcnt(0)
	s_barrier
	s_and_b64 exec, exec, vcc
	s_cbranch_execz .LBB0_23
; %bb.22:
	global_load_dwordx2 v[8:9], v47, s[12:13]
	global_load_dwordx2 v[10:11], v47, s[12:13] offset:336
	global_load_dwordx2 v[12:13], v47, s[12:13] offset:672
	;; [unrolled: 1-line block ×7, first 2 shown]
	v_mad_u64_u32 v[18:19], s[0:1], s6, v40, 0
	v_mad_u64_u32 v[20:21], s[2:3], s4, v48, 0
	s_mul_i32 s3, s5, 0x150
	s_mul_hi_u32 s6, s4, 0x150
	s_add_i32 s3, s6, s3
	v_mad_u64_u32 v[30:31], s[6:7], s7, v40, v[19:20]
	s_mul_i32 s2, s4, 0x150
	v_mov_b32_e32 v33, s15
	v_mov_b32_e32 v19, v30
	v_lshlrev_b64 v[18:19], 3, v[18:19]
	v_lshl_add_u32 v0, v48, 3, v49
	v_add_co_u32_e32 v18, vcc, s14, v18
	v_addc_co_u32_e32 v19, vcc, v33, v19, vcc
	v_add_u32_e32 v36, v49, v47
	ds_read_b64 v[28:29], v0
	ds_read2_b64 v[0:3], v36 offset0:42 offset1:84
	ds_read2_b64 v[4:7], v36 offset0:126 offset1:168
	v_mov_b32_e32 v34, s3
	s_mov_b32 s0, 0x4046ed29
	s_mov_b32 s1, 0x3f61bb4a
	s_waitcnt vmcnt(6) lgkmcnt(1)
	v_mul_f32_e32 v33, v1, v11
	v_mul_f32_e32 v11, v0, v11
	s_waitcnt vmcnt(2)
	v_mad_u64_u32 v[31:32], s[4:5], s5, v48, v[21:22]
	v_mov_b32_e32 v32, s3
	s_waitcnt lgkmcnt(0)
	v_mul_f32_e32 v35, v5, v15
	v_mov_b32_e32 v21, v31
	v_lshlrev_b64 v[20:21], 3, v[20:21]
	v_mul_f32_e32 v15, v4, v15
	v_add_co_u32_e32 v18, vcc, v18, v20
	v_addc_co_u32_e32 v19, vcc, v19, v21, vcc
	v_add_co_u32_e32 v20, vcc, s2, v18
	v_addc_co_u32_e32 v21, vcc, v19, v32, vcc
	v_add_co_u32_e32 v30, vcc, s2, v20
	v_mul_f32_e32 v32, v29, v9
	v_mul_f32_e32 v9, v28, v9
	v_addc_co_u32_e32 v31, vcc, v21, v34, vcc
	v_mul_f32_e32 v34, v3, v13
	v_mul_f32_e32 v13, v2, v13
	v_fmac_f32_e32 v32, v28, v8
	v_fma_f32 v8, v8, v29, -v9
	v_fmac_f32_e32 v33, v0, v10
	v_fma_f32 v9, v10, v1, -v11
	;; [unrolled: 2-line block ×3, first 2 shown]
	v_cvt_f64_f32_e32 v[0:1], v32
	v_cvt_f64_f32_e32 v[2:3], v8
	v_fmac_f32_e32 v35, v4, v14
	v_fma_f32 v28, v14, v5, -v15
	v_cvt_f64_f32_e32 v[4:5], v33
	v_cvt_f64_f32_e32 v[8:9], v9
	v_cvt_f64_f32_e32 v[10:11], v34
	v_cvt_f64_f32_e32 v[12:13], v12
	v_cvt_f64_f32_e32 v[14:15], v35
	global_load_dwordx2 v[34:35], v47, s[12:13] offset:2688
	v_mul_f64 v[0:1], v[0:1], s[0:1]
	v_mul_f64 v[2:3], v[2:3], s[0:1]
	;; [unrolled: 1-line block ×7, first 2 shown]
	v_mul_f32_e32 v37, v7, v17
	v_cvt_f32_f64_e32 v0, v[0:1]
	v_cvt_f32_f64_e32 v1, v[2:3]
	;; [unrolled: 1-line block ×6, first 2 shown]
	global_store_dwordx2 v[18:19], v[0:1], off
	global_store_dwordx2 v[20:21], v[2:3], off
	;; [unrolled: 1-line block ×3, first 2 shown]
	global_load_dwordx2 v[4:5], v47, s[12:13] offset:3024
	v_cvt_f32_f64_e32 v8, v[14:15]
	global_load_dwordx2 v[14:15], v47, s[12:13] offset:3360
	v_fmac_f32_e32 v37, v6, v16
	v_cvt_f64_f32_e32 v[28:29], v28
	v_cvt_f64_f32_e32 v[32:33], v37
	v_mul_f32_e32 v0, v6, v17
	v_fma_f32 v0, v16, v7, -v0
	v_mul_f64 v[28:29], v[28:29], s[0:1]
	v_cvt_f64_f32_e32 v[0:1], v0
	v_mul_f64 v[6:7], v[32:33], s[0:1]
	v_mov_b32_e32 v13, s3
	v_add_co_u32_e32 v12, vcc, s2, v30
	v_mul_f64 v[10:11], v[0:1], s[0:1]
	ds_read2_b64 v[0:3], v36 offset0:210 offset1:252
	v_cvt_f32_f64_e32 v9, v[28:29]
	v_addc_co_u32_e32 v13, vcc, v31, v13, vcc
	v_cvt_f32_f64_e32 v6, v[6:7]
	s_waitcnt lgkmcnt(0)
	v_mul_f32_e32 v7, v1, v23
	v_fmac_f32_e32 v7, v0, v22
	v_mul_f32_e32 v0, v0, v23
	v_fma_f32 v0, v22, v1, -v0
	global_store_dwordx2 v[12:13], v[8:9], off
	v_cvt_f64_f32_e32 v[8:9], v7
	v_cvt_f64_f32_e32 v[0:1], v0
	v_cvt_f32_f64_e32 v7, v[10:11]
	v_mov_b32_e32 v11, s3
	v_add_co_u32_e32 v10, vcc, s2, v12
	v_mul_f64 v[8:9], v[8:9], s[0:1]
	v_addc_co_u32_e32 v11, vcc, v13, v11, vcc
	v_mul_f64 v[0:1], v[0:1], s[0:1]
	global_store_dwordx2 v[10:11], v[6:7], off
	s_waitcnt vmcnt(9)
	v_mul_f32_e32 v7, v3, v25
	v_fmac_f32_e32 v7, v2, v24
	v_mul_f32_e32 v2, v2, v25
	v_fma_f32 v2, v24, v3, -v2
	v_cvt_f64_f32_e32 v[2:3], v2
	v_add_u32_e32 v17, 0x800, v36
	v_cvt_f32_f64_e32 v6, v[8:9]
	v_cvt_f64_f32_e32 v[8:9], v7
	v_cvt_f32_f64_e32 v7, v[0:1]
	v_mul_f64 v[12:13], v[2:3], s[0:1]
	ds_read2_b64 v[0:3], v17 offset0:38 offset1:80
	v_mov_b32_e32 v16, s3
	v_add_co_u32_e32 v10, vcc, s2, v10
	v_addc_co_u32_e32 v11, vcc, v11, v16, vcc
	global_store_dwordx2 v[10:11], v[6:7], off
	s_waitcnt vmcnt(9) lgkmcnt(0)
	v_mul_f32_e32 v6, v1, v27
	v_fmac_f32_e32 v6, v0, v26
	v_cvt_f64_f32_e32 v[6:7], v6
	v_mul_f64 v[8:9], v[8:9], s[0:1]
	v_mul_f32_e32 v0, v0, v27
	v_fma_f32 v0, v26, v1, -v0
	v_mul_f64 v[6:7], v[6:7], s[0:1]
	v_cvt_f64_f32_e32 v[0:1], v0
	v_add_co_u32_e32 v10, vcc, s2, v10
	v_cvt_f32_f64_e32 v8, v[8:9]
	v_cvt_f32_f64_e32 v9, v[12:13]
	v_mov_b32_e32 v12, s3
	v_mul_f64 v[0:1], v[0:1], s[0:1]
	v_cvt_f32_f64_e32 v6, v[6:7]
	s_waitcnt vmcnt(8)
	v_mul_f32_e32 v7, v3, v35
	v_addc_co_u32_e32 v11, vcc, v11, v12, vcc
	v_fmac_f32_e32 v7, v2, v34
	global_store_dwordx2 v[10:11], v[8:9], off
	v_cvt_f64_f32_e32 v[8:9], v7
	v_mul_f32_e32 v2, v2, v35
	v_fma_f32 v2, v34, v3, -v2
	v_cvt_f64_f32_e32 v[2:3], v2
	v_mul_f64 v[8:9], v[8:9], s[0:1]
	v_cvt_f32_f64_e32 v7, v[0:1]
	v_mov_b32_e32 v0, s3
	v_add_co_u32_e32 v10, vcc, s2, v10
	v_mul_f64 v[12:13], v[2:3], s[0:1]
	v_addc_co_u32_e32 v11, vcc, v11, v0, vcc
	ds_read2_b64 v[0:3], v17 offset0:122 offset1:164
	global_store_dwordx2 v[10:11], v[6:7], off
	v_cvt_f32_f64_e32 v6, v[8:9]
	s_waitcnt vmcnt(6) lgkmcnt(0)
	v_mul_f32_e32 v8, v1, v5
	v_fmac_f32_e32 v8, v0, v4
	v_mul_f32_e32 v0, v0, v5
	v_fma_f32 v0, v4, v1, -v0
	v_cvt_f32_f64_e32 v7, v[12:13]
	v_cvt_f64_f32_e32 v[8:9], v8
	v_cvt_f64_f32_e32 v[0:1], v0
	v_mov_b32_e32 v12, s3
	v_add_co_u32_e32 v4, vcc, s2, v10
	v_addc_co_u32_e32 v5, vcc, v11, v12, vcc
	global_store_dwordx2 v[4:5], v[6:7], off
	v_mul_f64 v[6:7], v[8:9], s[0:1]
	v_mul_f64 v[0:1], v[0:1], s[0:1]
	s_waitcnt vmcnt(6)
	v_mul_f32_e32 v8, v3, v15
	v_fmac_f32_e32 v8, v2, v14
	v_mul_f32_e32 v2, v2, v15
	v_fma_f32 v2, v14, v3, -v2
	v_cvt_f64_f32_e32 v[8:9], v8
	v_cvt_f64_f32_e32 v[2:3], v2
	v_cvt_f32_f64_e32 v6, v[6:7]
	v_cvt_f32_f64_e32 v7, v[0:1]
	v_mul_f64 v[0:1], v[8:9], s[0:1]
	v_mul_f64 v[2:3], v[2:3], s[0:1]
	v_mov_b32_e32 v8, s3
	v_add_co_u32_e32 v4, vcc, s2, v4
	v_addc_co_u32_e32 v5, vcc, v5, v8, vcc
	global_store_dwordx2 v[4:5], v[6:7], off
	v_cvt_f32_f64_e32 v0, v[0:1]
	v_cvt_f32_f64_e32 v1, v[2:3]
	v_mov_b32_e32 v3, s3
	v_add_co_u32_e32 v2, vcc, s2, v4
	v_addc_co_u32_e32 v3, vcc, v5, v3, vcc
	global_store_dwordx2 v[2:3], v[0:1], off
.LBB0_23:
	s_endpgm
	.section	.rodata,"a",@progbits
	.p2align	6, 0x0
	.amdhsa_kernel bluestein_single_fwd_len462_dim1_sp_op_CI_CI
		.amdhsa_group_segment_fixed_size 11088
		.amdhsa_private_segment_fixed_size 0
		.amdhsa_kernarg_size 104
		.amdhsa_user_sgpr_count 6
		.amdhsa_user_sgpr_private_segment_buffer 1
		.amdhsa_user_sgpr_dispatch_ptr 0
		.amdhsa_user_sgpr_queue_ptr 0
		.amdhsa_user_sgpr_kernarg_segment_ptr 1
		.amdhsa_user_sgpr_dispatch_id 0
		.amdhsa_user_sgpr_flat_scratch_init 0
		.amdhsa_user_sgpr_private_segment_size 0
		.amdhsa_uses_dynamic_stack 0
		.amdhsa_system_sgpr_private_segment_wavefront_offset 0
		.amdhsa_system_sgpr_workgroup_id_x 1
		.amdhsa_system_sgpr_workgroup_id_y 0
		.amdhsa_system_sgpr_workgroup_id_z 0
		.amdhsa_system_sgpr_workgroup_info 0
		.amdhsa_system_vgpr_workitem_id 0
		.amdhsa_next_free_vgpr 127
		.amdhsa_next_free_sgpr 17
		.amdhsa_reserve_vcc 1
		.amdhsa_reserve_flat_scratch 0
		.amdhsa_float_round_mode_32 0
		.amdhsa_float_round_mode_16_64 0
		.amdhsa_float_denorm_mode_32 3
		.amdhsa_float_denorm_mode_16_64 3
		.amdhsa_dx10_clamp 1
		.amdhsa_ieee_mode 1
		.amdhsa_fp16_overflow 0
		.amdhsa_exception_fp_ieee_invalid_op 0
		.amdhsa_exception_fp_denorm_src 0
		.amdhsa_exception_fp_ieee_div_zero 0
		.amdhsa_exception_fp_ieee_overflow 0
		.amdhsa_exception_fp_ieee_underflow 0
		.amdhsa_exception_fp_ieee_inexact 0
		.amdhsa_exception_int_div_zero 0
	.end_amdhsa_kernel
	.text
.Lfunc_end0:
	.size	bluestein_single_fwd_len462_dim1_sp_op_CI_CI, .Lfunc_end0-bluestein_single_fwd_len462_dim1_sp_op_CI_CI
                                        ; -- End function
	.section	.AMDGPU.csdata,"",@progbits
; Kernel info:
; codeLenInByte = 9624
; NumSgprs: 21
; NumVgprs: 127
; ScratchSize: 0
; MemoryBound: 0
; FloatMode: 240
; IeeeMode: 1
; LDSByteSize: 11088 bytes/workgroup (compile time only)
; SGPRBlocks: 2
; VGPRBlocks: 31
; NumSGPRsForWavesPerEU: 21
; NumVGPRsForWavesPerEU: 127
; Occupancy: 2
; WaveLimiterHint : 1
; COMPUTE_PGM_RSRC2:SCRATCH_EN: 0
; COMPUTE_PGM_RSRC2:USER_SGPR: 6
; COMPUTE_PGM_RSRC2:TRAP_HANDLER: 0
; COMPUTE_PGM_RSRC2:TGID_X_EN: 1
; COMPUTE_PGM_RSRC2:TGID_Y_EN: 0
; COMPUTE_PGM_RSRC2:TGID_Z_EN: 0
; COMPUTE_PGM_RSRC2:TIDIG_COMP_CNT: 0
	.type	__hip_cuid_93a7535e0bc71cb5,@object ; @__hip_cuid_93a7535e0bc71cb5
	.section	.bss,"aw",@nobits
	.globl	__hip_cuid_93a7535e0bc71cb5
__hip_cuid_93a7535e0bc71cb5:
	.byte	0                               ; 0x0
	.size	__hip_cuid_93a7535e0bc71cb5, 1

	.ident	"AMD clang version 19.0.0git (https://github.com/RadeonOpenCompute/llvm-project roc-6.4.0 25133 c7fe45cf4b819c5991fe208aaa96edf142730f1d)"
	.section	".note.GNU-stack","",@progbits
	.addrsig
	.addrsig_sym __hip_cuid_93a7535e0bc71cb5
	.amdgpu_metadata
---
amdhsa.kernels:
  - .args:
      - .actual_access:  read_only
        .address_space:  global
        .offset:         0
        .size:           8
        .value_kind:     global_buffer
      - .actual_access:  read_only
        .address_space:  global
        .offset:         8
        .size:           8
        .value_kind:     global_buffer
      - .actual_access:  read_only
        .address_space:  global
        .offset:         16
        .size:           8
        .value_kind:     global_buffer
      - .actual_access:  read_only
        .address_space:  global
        .offset:         24
        .size:           8
        .value_kind:     global_buffer
      - .actual_access:  read_only
        .address_space:  global
        .offset:         32
        .size:           8
        .value_kind:     global_buffer
      - .offset:         40
        .size:           8
        .value_kind:     by_value
      - .address_space:  global
        .offset:         48
        .size:           8
        .value_kind:     global_buffer
      - .address_space:  global
        .offset:         56
        .size:           8
        .value_kind:     global_buffer
      - .address_space:  global
        .offset:         64
        .size:           8
        .value_kind:     global_buffer
      - .address_space:  global
        .offset:         72
        .size:           8
        .value_kind:     global_buffer
      - .offset:         80
        .size:           4
        .value_kind:     by_value
      - .address_space:  global
        .offset:         88
        .size:           8
        .value_kind:     global_buffer
      - .address_space:  global
        .offset:         96
        .size:           8
        .value_kind:     global_buffer
    .group_segment_fixed_size: 11088
    .kernarg_segment_align: 8
    .kernarg_segment_size: 104
    .language:       OpenCL C
    .language_version:
      - 2
      - 0
    .max_flat_workgroup_size: 231
    .name:           bluestein_single_fwd_len462_dim1_sp_op_CI_CI
    .private_segment_fixed_size: 0
    .sgpr_count:     21
    .sgpr_spill_count: 0
    .symbol:         bluestein_single_fwd_len462_dim1_sp_op_CI_CI.kd
    .uniform_work_group_size: 1
    .uses_dynamic_stack: false
    .vgpr_count:     127
    .vgpr_spill_count: 0
    .wavefront_size: 64
amdhsa.target:   amdgcn-amd-amdhsa--gfx906
amdhsa.version:
  - 1
  - 2
...

	.end_amdgpu_metadata
